;; amdgpu-corpus repo=ROCm/rocFFT kind=compiled arch=gfx1201 opt=O3
	.text
	.amdgcn_target "amdgcn-amd-amdhsa--gfx1201"
	.amdhsa_code_object_version 6
	.protected	fft_rtc_fwd_len243_factors_9_9_3_wgs_189_tpt_27_dim3_sp_op_CI_CI_unitstride_sbrr_dirReg ; -- Begin function fft_rtc_fwd_len243_factors_9_9_3_wgs_189_tpt_27_dim3_sp_op_CI_CI_unitstride_sbrr_dirReg
	.globl	fft_rtc_fwd_len243_factors_9_9_3_wgs_189_tpt_27_dim3_sp_op_CI_CI_unitstride_sbrr_dirReg
	.p2align	8
	.type	fft_rtc_fwd_len243_factors_9_9_3_wgs_189_tpt_27_dim3_sp_op_CI_CI_unitstride_sbrr_dirReg,@function
fft_rtc_fwd_len243_factors_9_9_3_wgs_189_tpt_27_dim3_sp_op_CI_CI_unitstride_sbrr_dirReg: ; @fft_rtc_fwd_len243_factors_9_9_3_wgs_189_tpt_27_dim3_sp_op_CI_CI_unitstride_sbrr_dirReg
; %bb.0:
	s_load_b64 s[4:5], s[0:1], 0x8
	v_mul_u32_u24_e32 v1, 0x97c, v0
	s_mov_b32 s6, exec_lo
	s_delay_alu instid0(VALU_DEP_1) | instskip(NEXT) | instid1(VALU_DEP_1)
	v_lshrrev_b32_e32 v1, 16, v1
	v_mad_co_u64_u32 v[3:4], null, ttmp9, 7, v[1:2]
	v_dual_mov_b32 v4, 0 :: v_dual_mov_b32 v1, 0
	v_mov_b32_e32 v2, 0
	s_delay_alu instid0(VALU_DEP_1) | instskip(SKIP_3) | instid1(VALU_DEP_4)
	v_dual_mov_b32 v6, v2 :: v_dual_mov_b32 v5, v1
	s_wait_kmcnt 0x0
	s_load_b64 s[2:3], s[4:5], 0x8
	s_wait_kmcnt 0x0
	v_cmpx_le_u64_e64 s[2:3], v[3:4]
	s_cbranch_execz .LBB0_2
; %bb.1:
	v_cvt_f32_u32_e32 v5, s2
	s_sub_co_i32 s7, 0, s2
	s_delay_alu instid0(VALU_DEP_1) | instskip(NEXT) | instid1(TRANS32_DEP_1)
	v_rcp_iflag_f32_e32 v5, v5
	v_mul_f32_e32 v5, 0x4f7ffffe, v5
	s_delay_alu instid0(VALU_DEP_1) | instskip(NEXT) | instid1(VALU_DEP_1)
	v_cvt_u32_f32_e32 v5, v5
	v_mul_lo_u32 v6, s7, v5
	s_delay_alu instid0(VALU_DEP_1) | instskip(NEXT) | instid1(VALU_DEP_1)
	v_mul_hi_u32 v6, v5, v6
	v_add_nc_u32_e32 v5, v5, v6
	s_delay_alu instid0(VALU_DEP_1) | instskip(NEXT) | instid1(VALU_DEP_1)
	v_mul_hi_u32 v5, v3, v5
	v_mul_lo_u32 v6, v5, s2
	v_add_nc_u32_e32 v7, 1, v5
	s_delay_alu instid0(VALU_DEP_2) | instskip(NEXT) | instid1(VALU_DEP_1)
	v_sub_nc_u32_e32 v6, v3, v6
	v_subrev_nc_u32_e32 v8, s2, v6
	v_cmp_le_u32_e32 vcc_lo, s2, v6
	s_delay_alu instid0(VALU_DEP_2) | instskip(NEXT) | instid1(VALU_DEP_1)
	v_dual_cndmask_b32 v6, v6, v8 :: v_dual_cndmask_b32 v5, v5, v7
	v_cmp_le_u32_e32 vcc_lo, s2, v6
	s_delay_alu instid0(VALU_DEP_2) | instskip(SKIP_1) | instid1(VALU_DEP_1)
	v_dual_mov_b32 v6, v4 :: v_dual_add_nc_u32 v7, 1, v5
	s_wait_alu 0xfffd
	v_cndmask_b32_e32 v5, v5, v7, vcc_lo
.LBB0_2:
	s_or_b32 exec_lo, exec_lo, s6
	s_load_b64 s[8:9], s[4:5], 0x10
	s_mov_b32 s4, exec_lo
	s_wait_kmcnt 0x0
	v_cmpx_le_u64_e64 s[8:9], v[5:6]
	s_cbranch_execz .LBB0_4
; %bb.3:
	v_cvt_f32_u32_e32 v1, s8
	s_sub_co_i32 s5, 0, s8
	s_delay_alu instid0(VALU_DEP_1) | instskip(NEXT) | instid1(TRANS32_DEP_1)
	v_rcp_iflag_f32_e32 v1, v1
	v_mul_f32_e32 v1, 0x4f7ffffe, v1
	s_delay_alu instid0(VALU_DEP_1) | instskip(NEXT) | instid1(VALU_DEP_1)
	v_cvt_u32_f32_e32 v1, v1
	v_mul_lo_u32 v2, s5, v1
	s_delay_alu instid0(VALU_DEP_1) | instskip(NEXT) | instid1(VALU_DEP_1)
	v_mul_hi_u32 v2, v1, v2
	v_add_nc_u32_e32 v1, v1, v2
	s_delay_alu instid0(VALU_DEP_1) | instskip(NEXT) | instid1(VALU_DEP_1)
	v_mul_hi_u32 v1, v5, v1
	v_mul_lo_u32 v2, v1, s8
	v_add_nc_u32_e32 v4, 1, v1
	s_delay_alu instid0(VALU_DEP_2) | instskip(NEXT) | instid1(VALU_DEP_1)
	v_sub_nc_u32_e32 v2, v5, v2
	v_subrev_nc_u32_e32 v7, s8, v2
	v_cmp_le_u32_e32 vcc_lo, s8, v2
	s_wait_alu 0xfffd
	s_delay_alu instid0(VALU_DEP_2) | instskip(NEXT) | instid1(VALU_DEP_1)
	v_dual_cndmask_b32 v2, v2, v7 :: v_dual_cndmask_b32 v1, v1, v4
	v_cmp_le_u32_e32 vcc_lo, s8, v2
	v_mov_b32_e32 v2, 0
	s_delay_alu instid0(VALU_DEP_3) | instskip(SKIP_1) | instid1(VALU_DEP_1)
	v_add_nc_u32_e32 v4, 1, v1
	s_wait_alu 0xfffd
	v_cndmask_b32_e32 v1, v1, v4, vcc_lo
.LBB0_4:
	s_or_b32 exec_lo, exec_lo, s4
	v_mad_co_u64_u32 v[7:8], null, v5, s2, 0
	s_load_b128 s[4:7], s[0:1], 0x18
	s_delay_alu instid0(VALU_DEP_2) | instskip(NEXT) | instid1(VALU_DEP_2)
	v_mad_co_u64_u32 v[9:10], null, v1, s8, 0
	v_mov_b32_e32 v4, v8
	s_delay_alu instid0(VALU_DEP_2) | instskip(NEXT) | instid1(VALU_DEP_2)
	v_mov_b32_e32 v8, v10
	v_mad_co_u64_u32 v[10:11], null, v5, s3, v[4:5]
	v_sub_co_u32 v22, s3, v3, v7
	s_delay_alu instid0(VALU_DEP_3)
	v_mad_co_u64_u32 v[11:12], null, v1, s9, v[8:9]
	s_load_b64 s[8:9], s[0:1], 0x0
	s_wait_kmcnt 0x0
	v_cmp_gt_u64_e32 vcc_lo, s[6:7], v[1:2]
	v_cmp_le_u64_e64 s2, s[6:7], v[1:2]
	v_mov_b32_e32 v2, v10
	s_delay_alu instid0(VALU_DEP_4) | instskip(NEXT) | instid1(VALU_DEP_2)
	v_mov_b32_e32 v4, v11
                                        ; implicit-def: $sgpr6_sgpr7
	v_sub_co_ci_u32_e64 v23, s3, 0, v2, s3
	v_sub_co_u32 v24, s3, v5, v9
	s_wait_alu 0xf1ff
	s_delay_alu instid0(VALU_DEP_3)
	v_sub_co_ci_u32_e64 v25, s3, v6, v4, s3
	v_and_b32_e32 v4, 0xffff, v0
                                        ; implicit-def: $vgpr2
	s_and_saveexec_b32 s3, s2
	s_wait_alu 0xfffe
	s_xor_b32 s2, exec_lo, s3
; %bb.5:
	s_delay_alu instid0(VALU_DEP_1) | instskip(SKIP_1) | instid1(VALU_DEP_1)
	v_mul_u32_u24_e32 v2, 0x97c, v4
	s_mov_b64 s[6:7], 0
                                        ; implicit-def: $vgpr4
	v_lshrrev_b32_e32 v2, 16, v2
	s_delay_alu instid0(VALU_DEP_1) | instskip(NEXT) | instid1(VALU_DEP_1)
	v_mul_lo_u16 v2, v2, 27
	v_sub_nc_u16 v0, v0, v2
	s_delay_alu instid0(VALU_DEP_1)
	v_and_b32_e32 v2, 0xffff, v0
                                        ; implicit-def: $vgpr0
; %bb.6:
	s_wait_alu 0xfffe
	s_or_saveexec_b32 s3, s2
	v_dual_mov_b32 v11, s7 :: v_dual_mov_b32 v10, s6
	v_dual_mov_b32 v13, s7 :: v_dual_mov_b32 v12, s6
	;; [unrolled: 1-line block ×4, first 2 shown]
                                        ; implicit-def: $vgpr5
                                        ; implicit-def: $vgpr21
                                        ; implicit-def: $vgpr19
                                        ; implicit-def: $vgpr17
                                        ; implicit-def: $vgpr9
	s_wait_alu 0xfffe
	s_xor_b32 exec_lo, exec_lo, s3
	s_cbranch_execz .LBB0_8
; %bb.7:
	s_load_b64 s[6:7], s[0:1], 0x10
	v_mul_u32_u24_e32 v2, 0x97c, v4
	s_wait_kmcnt 0x0
	s_clause 0x1
	s_load_b64 s[10:11], s[6:7], 0x18
	s_load_b128 s[12:15], s[6:7], 0x8
	v_lshrrev_b32_e32 v6, 16, v2
	s_load_b64 s[6:7], s[0:1], 0x50
	s_delay_alu instid0(VALU_DEP_1) | instskip(NEXT) | instid1(VALU_DEP_1)
	v_mul_lo_u16 v10, v6, 27
	v_sub_nc_u16 v0, v0, v10
	s_wait_kmcnt 0x0
	v_mad_co_u64_u32 v[4:5], null, s10, v1, 0
	v_mul_lo_u32 v11, s15, v24
	v_mul_lo_u32 v12, s13, v22
	;; [unrolled: 1-line block ×3, first 2 shown]
	v_mad_co_u64_u32 v[8:9], null, s12, v22, 0
	v_mov_b32_e32 v2, v5
	s_delay_alu instid0(VALU_DEP_2) | instskip(NEXT) | instid1(VALU_DEP_2)
	v_add3_u32 v9, v9, v13, v12
	v_mad_co_u64_u32 v[5:6], null, s11, v1, v[2:3]
	v_mul_lo_u32 v2, s14, v25
	v_mad_co_u64_u32 v[6:7], null, s14, v24, 0
	s_delay_alu instid0(VALU_DEP_3) | instskip(NEXT) | instid1(VALU_DEP_2)
	v_lshlrev_b64_e32 v[4:5], 3, v[4:5]
	v_add3_u32 v7, v7, v2, v11
	v_and_b32_e32 v2, 0xffff, v0
	s_delay_alu instid0(VALU_DEP_3) | instskip(NEXT) | instid1(VALU_DEP_3)
	v_add_co_u32 v0, s2, s6, v4
	v_lshlrev_b64_e32 v[6:7], 3, v[6:7]
	s_wait_alu 0xf1ff
	v_add_co_ci_u32_e64 v10, s2, s7, v5, s2
	v_lshlrev_b64_e32 v[4:5], 3, v[8:9]
	s_delay_alu instid0(VALU_DEP_3) | instskip(SKIP_1) | instid1(VALU_DEP_3)
	v_add_co_u32 v0, s2, v0, v6
	s_wait_alu 0xf1ff
	v_add_co_ci_u32_e64 v6, s2, v10, v7, s2
	v_lshlrev_b32_e32 v7, 3, v2
	s_delay_alu instid0(VALU_DEP_3) | instskip(SKIP_1) | instid1(VALU_DEP_3)
	v_add_co_u32 v0, s2, v0, v4
	s_wait_alu 0xf1ff
	v_add_co_ci_u32_e64 v4, s2, v6, v5, s2
	s_delay_alu instid0(VALU_DEP_2) | instskip(SKIP_1) | instid1(VALU_DEP_2)
	v_add_co_u32 v20, s2, v0, v7
	s_wait_alu 0xf1ff
	v_add_co_ci_u32_e64 v21, s2, 0, v4, s2
	s_clause 0x8
	global_load_b64 v[4:5], v[20:21], off
	global_load_b64 v[10:11], v[20:21], off offset:216
	global_load_b64 v[12:13], v[20:21], off offset:432
	;; [unrolled: 1-line block ×8, first 2 shown]
.LBB0_8:
	s_or_b32 exec_lo, exec_lo, s3
	v_mul_hi_u32 v0, 0x24924925, v3
	s_wait_loadcnt 0x0
	v_dual_add_f32 v26, v20, v10 :: v_dual_add_f32 v27, v21, v11
	v_sub_f32_e32 v20, v10, v20
	v_dual_add_f32 v28, v18, v12 :: v_dual_add_f32 v29, v19, v13
	v_dual_add_f32 v30, v16, v14 :: v_dual_sub_f32 v21, v11, v21
	v_sub_nc_u32_e32 v31, v3, v0
	v_dual_add_f32 v32, v17, v15 :: v_dual_sub_f32 v33, v12, v18
	v_dual_sub_f32 v36, v6, v8 :: v_dual_sub_f32 v37, v7, v9
	s_delay_alu instid0(VALU_DEP_3) | instskip(SKIP_1) | instid1(VALU_DEP_4)
	v_lshrrev_b32_e32 v10, 1, v31
	v_dual_sub_f32 v31, v13, v19 :: v_dual_add_f32 v38, v8, v6
	v_dual_mul_f32 v13, 0x3f7c1c5c, v33 :: v_dual_sub_f32 v34, v14, v16
	s_delay_alu instid0(VALU_DEP_3) | instskip(SKIP_3) | instid1(VALU_DEP_4)
	v_dual_sub_f32 v35, v15, v17 :: v_dual_add_nc_u32 v0, v10, v0
	v_dual_add_f32 v39, v9, v7 :: v_dual_fmamk_f32 v10, v26, 0x3f441b7d, v4
	v_fmamk_f32 v11, v27, 0x3f441b7d, v5
	v_mul_f32_e32 v16, 0xbf248dbb, v37
	v_lshrrev_b32_e32 v0, 2, v0
	s_delay_alu instid0(VALU_DEP_4) | instskip(NEXT) | instid1(VALU_DEP_4)
	v_dual_fmamk_f32 v14, v38, 0x3f441b7d, v4 :: v_dual_fmamk_f32 v15, v39, 0x3f441b7d, v5
	v_dual_fmac_f32 v10, 0x3e31d0d4, v28 :: v_dual_fmac_f32 v11, 0x3e31d0d4, v29
	s_delay_alu instid0(VALU_DEP_3) | instskip(SKIP_1) | instid1(VALU_DEP_4)
	v_mul_lo_u32 v0, v0, 7
	v_mul_f32_e32 v12, 0x3f7c1c5c, v31
	v_dual_fmac_f32 v14, 0x3e31d0d4, v26 :: v_dual_fmac_f32 v15, 0x3e31d0d4, v27
	s_delay_alu instid0(VALU_DEP_4) | instskip(NEXT) | instid1(VALU_DEP_3)
	v_fmac_f32_e32 v11, -0.5, v32
	v_dual_fmac_f32 v13, 0x3f248dbb, v20 :: v_dual_fmac_f32 v12, 0x3f248dbb, v21
	v_dual_add_f32 v17, v20, v36 :: v_dual_add_f32 v18, v21, v37
	v_sub_nc_u32_e32 v0, v3, v0
	v_mul_f32_e32 v3, 0xbf248dbb, v36
	s_delay_alu instid0(VALU_DEP_4) | instskip(SKIP_1) | instid1(VALU_DEP_3)
	v_dual_fmac_f32 v13, 0x3f5db3d7, v34 :: v_dual_fmac_f32 v12, 0x3f5db3d7, v35
	v_fmac_f32_e32 v10, -0.5, v30
	v_dual_fmac_f32 v16, 0x3f7c1c5c, v21 :: v_dual_fmac_f32 v3, 0x3f7c1c5c, v20
	s_delay_alu instid0(VALU_DEP_3) | instskip(NEXT) | instid1(VALU_DEP_3)
	v_dual_fmac_f32 v13, 0x3eaf1d44, v36 :: v_dual_fmac_f32 v12, 0x3eaf1d44, v37
	v_dual_fmac_f32 v15, -0.5, v32 :: v_dual_fmac_f32 v10, 0xbf708fb2, v38
	v_fmac_f32_e32 v11, 0xbf708fb2, v39
	s_delay_alu instid0(VALU_DEP_4) | instskip(SKIP_1) | instid1(VALU_DEP_4)
	v_dual_fmac_f32 v16, 0xbf5db3d7, v35 :: v_dual_fmac_f32 v3, 0xbf5db3d7, v34
	v_fmac_f32_e32 v14, -0.5, v30
	v_dual_add_f32 v10, v10, v12 :: v_dual_fmac_f32 v15, 0xbf708fb2, v29
	v_dual_sub_f32 v40, v17, v33 :: v_dual_add_f32 v41, v26, v28
	s_delay_alu instid0(VALU_DEP_4) | instskip(SKIP_2) | instid1(VALU_DEP_3)
	v_fmac_f32_e32 v3, 0x3eaf1d44, v33
	v_add_f32_e32 v42, v27, v29
	v_dual_fmac_f32 v16, 0x3eaf1d44, v31 :: v_dual_sub_f32 v11, v11, v13
	v_dual_fmac_f32 v14, 0xbf708fb2, v28 :: v_dual_sub_f32 v15, v15, v3
	v_dual_mul_f32 v43, 0x3f5db3d7, v40 :: v_dual_add_f32 v44, v41, v30
	s_delay_alu instid0(VALU_DEP_2) | instskip(NEXT) | instid1(VALU_DEP_3)
	v_dual_add_f32 v45, v42, v32 :: v_dual_add_f32 v14, v16, v14
	v_fma_f32 v17, 2.0, v3, v15
	v_dual_sub_f32 v3, v18, v31 :: v_dual_add_f32 v18, v4, v30
	v_add_f32_e32 v19, v5, v32
	v_dual_add_f32 v41, v41, v38 :: v_dual_add_f32 v42, v42, v39
	v_dual_add_f32 v6, v44, v6 :: v_dual_add_f32 v7, v45, v7
	s_delay_alu instid0(VALU_DEP_4) | instskip(NEXT) | instid1(VALU_DEP_3)
	v_mul_f32_e32 v46, 0x3f5db3d7, v3
	v_fmac_f32_e32 v18, -0.5, v41
	v_mul_f32_e32 v36, 0x3f7c1c5c, v36
	v_mul_u32_u24_e32 v0, 0xf3, v0
	v_dual_add_f32 v7, v9, v7 :: v_dual_add_f32 v6, v8, v6
	s_delay_alu instid0(VALU_DEP_4) | instskip(SKIP_2) | instid1(VALU_DEP_4)
	v_fmac_f32_e32 v18, 0x3f5db3d7, v3
	v_mul_f32_e32 v3, 0x3f7c1c5c, v37
	v_fma_f32 v9, 0xbf248dbb, v33, -v36
	v_dual_add_f32 v7, v5, v7 :: v_dual_add_f32 v6, v4, v6
	v_dual_fmac_f32 v5, 0x3f441b7d, v29 :: v_dual_fmac_f32 v4, 0x3f441b7d, v28
	s_delay_alu instid0(VALU_DEP_4) | instskip(NEXT) | instid1(VALU_DEP_4)
	v_fma_f32 v28, 0xbf248dbb, v31, -v3
	v_fmac_f32_e32 v9, 0x3f5db3d7, v34
	v_fmac_f32_e32 v19, -0.5, v42
	s_delay_alu instid0(VALU_DEP_4) | instskip(NEXT) | instid1(VALU_DEP_4)
	v_dual_fmac_f32 v5, 0x3e31d0d4, v39 :: v_dual_fmac_f32 v4, 0x3e31d0d4, v38
	v_fmac_f32_e32 v28, 0x3f5db3d7, v35
	s_delay_alu instid0(VALU_DEP_4) | instskip(SKIP_1) | instid1(VALU_DEP_4)
	v_fmac_f32_e32 v9, 0x3eaf1d44, v20
	v_fma_f32 v16, -2.0, v16, v14
	v_dual_fmac_f32 v5, -0.5, v32 :: v_dual_fmac_f32 v4, -0.5, v30
	v_lshlrev_b32_e32 v42, 3, v0
	v_fmac_f32_e32 v28, 0x3eaf1d44, v21
	v_fma_f32 v8, -2.0, v46, v18
	s_delay_alu instid0(VALU_DEP_4) | instskip(SKIP_4) | instid1(VALU_DEP_4)
	v_fmac_f32_e32 v5, 0xbf708fb2, v27
	v_and_b32_e32 v3, 0xff, v2
	v_fmac_f32_e32 v4, 0xbf708fb2, v26
	v_dual_fmac_f32 v19, 0xbf5db3d7, v40 :: v_dual_add_nc_u32 v38, 0, v42
	v_fma_f32 v12, -2.0, v12, v10
	v_mul_lo_u16 v3, v3, 57
	v_fma_f32 v13, 2.0, v13, v11
	s_clause 0x1
	s_load_b64 s[2:3], s[4:5], 0x8
	s_load_b128 s[4:7], s[4:5], 0x10
	v_mad_u32_u24 v26, 0x48, v2, v38
	v_lshrrev_b16 v30, 9, v3
	s_delay_alu instid0(VALU_DEP_1) | instskip(NEXT) | instid1(VALU_DEP_1)
	v_mul_lo_u16 v0, v30, 9
	v_sub_nc_u16 v0, v2, v0
	s_delay_alu instid0(VALU_DEP_1) | instskip(SKIP_1) | instid1(VALU_DEP_2)
	v_and_b32_e32 v39, 0xff, v0
	v_dual_add_f32 v3, v4, v28 :: v_dual_sub_f32 v4, v5, v9
	v_lshlrev_b32_e32 v0, 6, v39
	s_delay_alu instid0(VALU_DEP_2) | instskip(NEXT) | instid1(VALU_DEP_3)
	v_fma_f32 v20, -2.0, v28, v3
	v_fma_f32 v21, 2.0, v9, v4
	v_fma_f32 v9, 2.0, v43, v19
	ds_store_2addr_b64 v26, v[6:7], v[10:11] offset1:1
	ds_store_2addr_b64 v26, v[14:15], v[18:19] offset0:2 offset1:3
	ds_store_2addr_b64 v26, v[3:4], v[20:21] offset0:4 offset1:5
	;; [unrolled: 1-line block ×3, first 2 shown]
	ds_store_b64 v26, v[12:13] offset:64
	global_wb scope:SCOPE_SE
	s_wait_dscnt 0x0
	s_wait_kmcnt 0x0
	s_barrier_signal -1
	s_barrier_wait -1
	global_inv scope:SCOPE_SE
	s_clause 0x3
	global_load_b128 v[4:7], v0, s[8:9]
	global_load_b128 v[8:11], v0, s[8:9] offset:16
	global_load_b128 v[12:15], v0, s[8:9] offset:32
	;; [unrolled: 1-line block ×3, first 2 shown]
	v_lshlrev_b32_e32 v0, 6, v2
	v_and_b32_e32 v3, 0xffff, v30
	s_delay_alu instid0(VALU_DEP_2)
	v_sub_nc_u32_e32 v0, v26, v0
	ds_load_2addr_b64 v[26:29], v0 offset0:27 offset1:54
	ds_load_2addr_b64 v[30:33], v0 offset0:81 offset1:108
	;; [unrolled: 1-line block ×3, first 2 shown]
	s_wait_loadcnt_dscnt 0x302
	v_mul_f32_e32 v44, v7, v29
	s_wait_loadcnt_dscnt 0x201
	v_mul_f32_e32 v46, v11, v33
	v_mad_u32_u24 v20, 0x288, v3, 0
	v_lshlrev_b32_e32 v21, 3, v39
	v_lshl_add_u32 v3, v2, 3, v38
	ds_load_2addr_b64 v[38:41], v0 offset0:189 offset1:216
	v_mul_f32_e32 v43, v5, v27
	v_mul_f32_e32 v5, v5, v26
	v_add3_u32 v42, v20, v21, v42
	ds_load_b64 v[20:21], v3
	v_mul_f32_e32 v7, v7, v28
	v_mul_f32_e32 v45, v9, v31
	s_wait_loadcnt_dscnt 0x102
	v_dual_mul_f32 v11, v11, v32 :: v_dual_mul_f32 v48, v37, v15
	v_fma_f32 v26, v4, v26, -v43
	v_fmac_f32_e32 v5, v4, v27
	v_fma_f32 v4, v6, v28, -v44
	global_wb scope:SCOPE_SE
	s_wait_loadcnt_dscnt 0x0
	s_barrier_signal -1
	s_barrier_wait -1
	global_inv scope:SCOPE_SE
	v_dual_mul_f32 v49, v39, v17 :: v_dual_mul_f32 v50, v41, v19
	v_mul_f32_e32 v19, v40, v19
	s_delay_alu instid0(VALU_DEP_2) | instskip(NEXT) | instid1(VALU_DEP_2)
	v_fma_f32 v27, v40, v18, -v50
	v_fmac_f32_e32 v19, v41, v18
	s_delay_alu instid0(VALU_DEP_4)
	v_fma_f32 v18, v38, v16, -v49
	v_mul_f32_e32 v47, v13, v35
	v_mul_f32_e32 v13, v13, v34
	v_fmac_f32_e32 v7, v6, v29
	v_fma_f32 v6, v8, v30, -v45
	v_mul_f32_e32 v9, v9, v30
	v_add_f32_e32 v28, v4, v18
	v_fmac_f32_e32 v13, v12, v35
	v_sub_f32_e32 v18, v4, v18
	s_delay_alu instid0(VALU_DEP_4) | instskip(SKIP_4) | instid1(VALU_DEP_1)
	v_fmac_f32_e32 v9, v8, v31
	v_fma_f32 v8, v10, v32, -v46
	v_fmac_f32_e32 v11, v10, v33
	v_fma_f32 v10, v12, v34, -v47
	v_fma_f32 v12, v36, v14, -v48
	v_dual_mul_f32 v15, v36, v15 :: v_dual_add_f32 v30, v6, v12
	s_delay_alu instid0(VALU_DEP_1) | instskip(SKIP_2) | instid1(VALU_DEP_4)
	v_dual_sub_f32 v6, v6, v12 :: v_dual_fmac_f32 v15, v37, v14
	v_add_f32_e32 v14, v26, v27
	v_sub_f32_e32 v26, v26, v27
	v_add_f32_e32 v4, v30, v20
	v_sub_f32_e32 v12, v8, v10
	s_delay_alu instid0(VALU_DEP_4) | instskip(NEXT) | instid1(VALU_DEP_4)
	v_fmamk_f32 v34, v14, 0x3f441b7d, v20
	v_dual_mul_f32 v17, v38, v17 :: v_dual_mul_f32 v32, 0x3f248dbb, v26
	s_delay_alu instid0(VALU_DEP_3) | instskip(SKIP_1) | instid1(VALU_DEP_4)
	v_mul_f32_e32 v36, 0xbf248dbb, v12
	v_add_f32_e32 v40, v12, v26
	v_fmac_f32_e32 v34, 0x3e31d0d4, v28
	s_delay_alu instid0(VALU_DEP_4) | instskip(SKIP_1) | instid1(VALU_DEP_2)
	v_dual_fmac_f32 v17, v39, v16 :: v_dual_add_f32 v16, v5, v19
	v_dual_add_f32 v31, v9, v15 :: v_dual_fmac_f32 v32, 0x3f7c1c5c, v18
	v_dual_sub_f32 v40, v40, v18 :: v_dual_add_f32 v29, v7, v17
	v_sub_f32_e32 v7, v7, v17
	v_add_f32_e32 v17, v8, v10
	v_dual_sub_f32 v19, v5, v19 :: v_dual_fmac_f32 v36, 0x3f7c1c5c, v26
	s_delay_alu instid0(VALU_DEP_4) | instskip(NEXT) | instid1(VALU_DEP_3)
	v_dual_add_f32 v43, v28, v14 :: v_dual_mul_f32 v50, 0x3f5db3d7, v40
	v_fmamk_f32 v38, v17, 0x3f441b7d, v20
	v_sub_f32_e32 v9, v9, v15
	v_sub_f32_e32 v15, v11, v13
	v_add_f32_e32 v27, v11, v13
	v_mul_f32_e32 v45, 0x3f7c1c5c, v12
	v_dual_mul_f32 v33, 0x3f248dbb, v19 :: v_dual_fmac_f32 v34, -0.5, v30
	s_delay_alu instid0(VALU_DEP_4) | instskip(SKIP_4) | instid1(VALU_DEP_4)
	v_mul_f32_e32 v46, 0x3f7c1c5c, v15
	v_dual_add_f32 v44, v29, v16 :: v_dual_add_f32 v41, v15, v19
	v_fmac_f32_e32 v32, 0x3f5db3d7, v6
	v_fma_f32 v45, 0xbf248dbb, v18, -v45
	v_dual_add_f32 v5, v31, v21 :: v_dual_fmac_f32 v36, 0xbf5db3d7, v6
	v_add_f32_e32 v49, v27, v44
	v_add_f32_e32 v44, v31, v44
	v_fmac_f32_e32 v34, 0xbf708fb2, v17
	v_add_f32_e32 v48, v17, v43
	v_dual_add_f32 v43, v30, v43 :: v_dual_fmac_f32 v32, 0x3eaf1d44, v12
	v_fmamk_f32 v47, v28, 0x3f441b7d, v20
	s_delay_alu instid0(VALU_DEP_3) | instskip(SKIP_1) | instid1(VALU_DEP_4)
	v_dual_mul_f32 v37, 0xbf248dbb, v15 :: v_dual_fmac_f32 v4, -0.5, v48
	v_fmamk_f32 v39, v27, 0x3f441b7d, v21
	v_dual_fmac_f32 v45, 0x3f5db3d7, v6 :: v_dual_add_f32 v6, v8, v43
	v_fma_f32 v46, 0xbf248dbb, v7, -v46
	v_dual_add_f32 v8, v11, v44 :: v_dual_fmac_f32 v47, 0x3e31d0d4, v17
	v_fmac_f32_e32 v38, 0x3e31d0d4, v14
	s_delay_alu instid0(VALU_DEP_4) | instskip(NEXT) | instid1(VALU_DEP_3)
	v_dual_add_f32 v6, v10, v6 :: v_dual_fmac_f32 v37, 0x3f7c1c5c, v19
	v_dual_fmac_f32 v33, 0x3f7c1c5c, v7 :: v_dual_add_f32 v8, v13, v8
	v_dual_sub_f32 v41, v41, v7 :: v_dual_fmac_f32 v46, 0x3f5db3d7, v9
	v_fmac_f32_e32 v47, -0.5, v30
	s_delay_alu instid0(VALU_DEP_4) | instskip(SKIP_1) | instid1(VALU_DEP_4)
	v_dual_add_f32 v6, v20, v6 :: v_dual_fmac_f32 v37, 0xbf5db3d7, v9
	v_dual_fmamk_f32 v35, v16, 0x3f441b7d, v21 :: v_dual_fmac_f32 v38, -0.5, v30
	v_fmac_f32_e32 v46, 0x3eaf1d44, v19
	s_delay_alu instid0(VALU_DEP_4) | instskip(SKIP_3) | instid1(VALU_DEP_4)
	v_fmac_f32_e32 v47, 0xbf708fb2, v14
	v_fmac_f32_e32 v33, 0x3f5db3d7, v9
	;; [unrolled: 1-line block ×3, first 2 shown]
	v_add_f32_e32 v7, v21, v8
	v_dual_fmac_f32 v21, 0x3f441b7d, v29 :: v_dual_add_f32 v14, v46, v47
	v_dual_fmac_f32 v5, -0.5, v49 :: v_dual_fmac_f32 v38, 0xbf708fb2, v28
	v_fmac_f32_e32 v39, 0x3e31d0d4, v16
	v_fmac_f32_e32 v33, 0x3eaf1d44, v15
	;; [unrolled: 1-line block ×3, first 2 shown]
	s_delay_alu instid0(VALU_DEP_4) | instskip(NEXT) | instid1(VALU_DEP_4)
	v_dual_fmac_f32 v21, 0x3e31d0d4, v27 :: v_dual_add_f32 v10, v37, v38
	v_dual_fmac_f32 v39, -0.5, v31 :: v_dual_fmac_f32 v4, 0x3f5db3d7, v41
	s_delay_alu instid0(VALU_DEP_3) | instskip(NEXT) | instid1(VALU_DEP_3)
	v_dual_add_f32 v8, v33, v34 :: v_dual_fmac_f32 v35, -0.5, v31
	v_dual_fmac_f32 v36, 0x3eaf1d44, v18 :: v_dual_fmac_f32 v21, -0.5, v31
	s_delay_alu instid0(VALU_DEP_3) | instskip(SKIP_1) | instid1(VALU_DEP_4)
	v_fmac_f32_e32 v39, 0xbf708fb2, v29
	v_fmac_f32_e32 v45, 0x3eaf1d44, v26
	;; [unrolled: 1-line block ×3, first 2 shown]
	v_mul_f32_e32 v51, 0x3f5db3d7, v41
	v_fmac_f32_e32 v21, 0xbf708fb2, v16
	v_fmac_f32_e32 v5, 0xbf5db3d7, v40
	v_sub_f32_e32 v11, v39, v36
	v_sub_f32_e32 v9, v35, v32
	v_fma_f32 v12, -2.0, v51, v4
	v_sub_f32_e32 v15, v21, v45
	v_fma_f32 v13, 2.0, v50, v5
	v_fma_f32 v18, -2.0, v37, v10
	v_fma_f32 v19, 2.0, v36, v11
	v_fma_f32 v16, -2.0, v33, v8
	;; [unrolled: 2-line block ×3, first 2 shown]
	v_fma_f32 v21, 2.0, v45, v15
	ds_store_2addr_b64 v42, v[6:7], v[8:9] offset1:9
	ds_store_2addr_b64 v42, v[10:11], v[4:5] offset0:18 offset1:27
	ds_store_2addr_b64 v42, v[12:13], v[18:19] offset0:54 offset1:63
	ds_store_b64 v42, v[16:17] offset:576
	ds_store_2addr_b64 v42, v[14:15], v[20:21] offset0:36 offset1:45
	global_wb scope:SCOPE_SE
	s_wait_dscnt 0x0
	s_barrier_signal -1
	s_barrier_wait -1
	global_inv scope:SCOPE_SE
	s_and_saveexec_b32 s10, vcc_lo
	s_cbranch_execz .LBB0_10
; %bb.9:
	v_dual_mov_b32 v33, 0 :: v_dual_lshlrev_b32 v4, 1, v2
	v_add_nc_u32_e32 v44, 27, v2
	v_mad_co_u64_u32 v[36:37], null, s6, v1, 0
	s_delay_alu instid0(VALU_DEP_3) | instskip(SKIP_3) | instid1(VALU_DEP_4)
	v_dual_mov_b32 v5, v33 :: v_dual_add_nc_u32 v32, 0x6c, v4
	v_add_nc_u32_e32 v45, 54, v2
	v_mul_hi_u32 v46, 0xca4587e7, v2
	v_mul_hi_u32 v47, 0xca4587e7, v44
	v_lshlrev_b64_e32 v[6:7], 3, v[32:33]
	v_add_nc_u32_e32 v32, 54, v4
	v_lshlrev_b64_e32 v[4:5], 3, v[4:5]
	s_load_b64 s[0:1], s[0:1], 0x58
	v_mul_lo_u32 v40, s5, v24
	v_mul_lo_u32 v41, s4, v25
	v_add_co_u32 v6, vcc_lo, s8, v6
	s_wait_alu 0xfffd
	v_add_co_ci_u32_e32 v7, vcc_lo, s9, v7, vcc_lo
	v_add_co_u32 v8, vcc_lo, s8, v4
	s_wait_alu 0xfffd
	v_add_co_ci_u32_e32 v9, vcc_lo, s9, v5, vcc_lo
	v_lshlrev_b64_e32 v[12:13], 3, v[32:33]
	s_clause 0x1
	global_load_b128 v[4:7], v[6:7], off offset:576
	global_load_b128 v[8:11], v[8:9], off offset:576
	v_mov_b32_e32 v32, v37
	v_mul_hi_u32 v48, 0xca4587e7, v45
	v_lshrrev_b32_e32 v37, 6, v46
	v_add_co_u32 v12, vcc_lo, s8, v12
	s_wait_alu 0xfffd
	v_add_co_ci_u32_e32 v13, vcc_lo, s9, v13, vcc_lo
	v_lshrrev_b32_e32 v46, 6, v47
	v_mad_co_u64_u32 v[34:35], null, s4, v24, 0
	global_load_b128 v[12:15], v[12:13], off offset:576
	v_mul_lo_u32 v42, s3, v22
	v_mul_lo_u32 v43, s2, v23
	v_mad_co_u64_u32 v[38:39], null, s2, v22, 0
	ds_load_2addr_b64 v[16:19], v0 offset0:135 offset1:162
	ds_load_2addr_b64 v[20:23], v0 offset0:189 offset1:216
	;; [unrolled: 1-line block ×4, first 2 shown]
	v_mad_co_u64_u32 v[0:1], null, s7, v1, v[32:33]
	v_lshrrev_b32_e32 v47, 6, v48
	v_mul_lo_u32 v32, 0x51, v37
	v_mul_lo_u32 v48, 0x51, v46
	v_add3_u32 v35, v35, v41, v40
	v_add3_u32 v39, v39, v43, v42
	v_mul_lo_u32 v42, 0x51, v47
	v_mov_b32_e32 v37, v0
	ds_load_b64 v[40:41], v3
	v_lshlrev_b64_e32 v[0:1], 3, v[34:35]
	v_sub_nc_u32_e32 v43, v2, v32
	v_sub_nc_u32_e32 v32, v44, v48
	v_lshlrev_b64_e32 v[34:35], 3, v[36:37]
	v_lshlrev_b64_e32 v[2:3], 3, v[38:39]
	v_sub_nc_u32_e32 v36, v45, v42
	v_lshlrev_b32_e32 v39, 3, v43
	v_mad_co_u64_u32 v[37:38], null, 0xf3, v46, v[32:33]
	v_mov_b32_e32 v38, v33
	s_wait_kmcnt 0x0
	v_add_co_u32 v32, vcc_lo, s0, v34
	s_wait_alu 0xfffd
	v_add_co_ci_u32_e32 v34, vcc_lo, s1, v35, vcc_lo
	s_delay_alu instid0(VALU_DEP_4) | instskip(NEXT) | instid1(VALU_DEP_3)
	v_mad_co_u64_u32 v[42:43], null, 0xf3, v47, v[36:37]
	v_add_co_u32 v36, vcc_lo, v32, v0
	s_wait_alu 0xfffd
	s_delay_alu instid0(VALU_DEP_3) | instskip(SKIP_1) | instid1(VALU_DEP_3)
	v_add_co_ci_u32_e32 v44, vcc_lo, v34, v1, vcc_lo
	v_dual_mov_b32 v43, v33 :: v_dual_add_nc_u32 v32, 0x51, v37
	v_add_co_u32 v45, vcc_lo, v36, v2
	v_lshlrev_b64_e32 v[0:1], 3, v[37:38]
	s_wait_alu 0xfffd
	v_add_co_ci_u32_e32 v46, vcc_lo, v44, v3, vcc_lo
	v_lshlrev_b64_e32 v[2:3], 3, v[32:33]
	v_add_nc_u32_e32 v32, 0xa2, v37
	v_lshlrev_b64_e32 v[34:35], 3, v[42:43]
	v_add_co_u32 v36, vcc_lo, v45, v39
	s_wait_alu 0xfffd
	v_add_co_ci_u32_e32 v37, vcc_lo, 0, v46, vcc_lo
	v_lshlrev_b64_e32 v[38:39], 3, v[32:33]
	v_add_nc_u32_e32 v32, 0x51, v42
	v_add_co_u32 v0, vcc_lo, v45, v0
	s_wait_alu 0xfffd
	v_add_co_ci_u32_e32 v1, vcc_lo, v46, v1, vcc_lo
	v_add_co_u32 v34, vcc_lo, v45, v34
	v_lshlrev_b64_e32 v[43:44], 3, v[32:33]
	v_add_nc_u32_e32 v32, 0xa2, v42
	s_wait_alu 0xfffd
	v_add_co_ci_u32_e32 v35, vcc_lo, v46, v35, vcc_lo
	v_add_co_u32 v2, vcc_lo, v45, v2
	s_wait_alu 0xfffd
	v_add_co_ci_u32_e32 v3, vcc_lo, v46, v3, vcc_lo
	v_add_co_u32 v38, vcc_lo, v45, v38
	;; [unrolled: 3-line block ×3, first 2 shown]
	s_wait_alu 0xfffd
	v_add_co_ci_u32_e32 v43, vcc_lo, v46, v44, vcc_lo
	s_wait_loadcnt_dscnt 0x104
	v_dual_mul_f32 v44, v5, v17 :: v_dual_mul_f32 v47, v11, v19
	v_mul_f32_e32 v19, v10, v19
	v_lshlrev_b64_e32 v[32:33], 3, v[32:33]
	v_mul_f32_e32 v17, v4, v17
	s_delay_alu instid0(VALU_DEP_4) | instskip(SKIP_1) | instid1(VALU_DEP_4)
	v_fma_f32 v4, v4, v16, -v44
	v_fma_f32 v10, v10, v18, -v47
	v_add_co_u32 v32, vcc_lo, v45, v32
	s_wait_alu 0xfffd
	v_add_co_ci_u32_e32 v33, vcc_lo, v46, v33, vcc_lo
	s_wait_dscnt 0x3
	v_mul_f32_e32 v45, v7, v23
	s_wait_dscnt 0x1
	v_dual_mul_f32 v23, v6, v23 :: v_dual_mul_f32 v46, v9, v29
	s_wait_loadcnt 0x0
	v_dual_fmac_f32 v17, v5, v16 :: v_dual_mul_f32 v16, v12, v31
	v_mul_f32_e32 v29, v8, v29
	v_fma_f32 v6, v6, v22, -v45
	v_fmac_f32_e32 v23, v22, v7
	v_dual_mul_f32 v22, v14, v21 :: v_dual_mul_f32 v5, v13, v31
	v_mul_f32_e32 v7, v15, v21
	v_fma_f32 v8, v8, v28, -v46
	v_fmac_f32_e32 v16, v13, v30
	v_dual_fmac_f32 v29, v9, v28 :: v_dual_add_f32 v28, v4, v26
	v_fmac_f32_e32 v19, v11, v18
	v_dual_sub_f32 v18, v4, v6 :: v_dual_add_f32 v9, v17, v23
	v_dual_fmac_f32 v22, v15, v20 :: v_dual_add_f32 v11, v17, v27
	v_add_f32_e32 v21, v4, v6
	v_sub_f32_e32 v17, v17, v23
	v_fma_f32 v12, v12, v30, -v5
	v_fma_f32 v20, v14, v20, -v7
	v_add_f32_e32 v14, v8, v10
	v_dual_add_f32 v6, v6, v28 :: v_dual_add_f32 v13, v29, v19
	v_dual_sub_f32 v30, v8, v10 :: v_dual_sub_f32 v31, v29, v19
	s_wait_dscnt 0x0
	v_dual_add_f32 v28, v24, v12 :: v_dual_add_f32 v15, v29, v41
	v_fma_f32 v5, -0.5, v9, v27
	v_fma_f32 v4, -0.5, v21, v26
	v_add_f32_e32 v29, v8, v40
	v_add_f32_e32 v21, v16, v22
	;; [unrolled: 1-line block ×3, first 2 shown]
	v_fma_f32 v8, -0.5, v14, v40
	v_dual_sub_f32 v27, v16, v22 :: v_dual_add_f32 v16, v25, v16
	v_fma_f32 v9, -0.5, v13, v41
	v_add_f32_e32 v7, v23, v11
	v_dual_sub_f32 v23, v12, v20 :: v_dual_fmamk_f32 v12, v17, 0xbf5db3d7, v4
	v_fmac_f32_e32 v4, 0x3f5db3d7, v17
	v_fma_f32 v14, -0.5, v26, v24
	v_add_f32_e32 v17, v16, v22
	v_dual_add_f32 v16, v28, v20 :: v_dual_add_f32 v11, v15, v19
	v_fma_f32 v15, -0.5, v21, v25
	v_dual_add_f32 v10, v29, v10 :: v_dual_fmamk_f32 v13, v18, 0x3f5db3d7, v5
	v_fmac_f32_e32 v5, 0xbf5db3d7, v18
	v_fmamk_f32 v19, v30, 0x3f5db3d7, v9
	v_dual_fmamk_f32 v18, v31, 0xbf5db3d7, v8 :: v_dual_fmac_f32 v9, 0xbf5db3d7, v30
	v_fmac_f32_e32 v8, 0x3f5db3d7, v31
	v_fmamk_f32 v21, v23, 0xbf5db3d7, v15
	v_fmamk_f32 v20, v27, 0x3f5db3d7, v14
	v_fmac_f32_e32 v14, 0xbf5db3d7, v27
	v_fmac_f32_e32 v15, 0x3f5db3d7, v23
	s_clause 0x8
	global_store_b64 v[36:37], v[10:11], off
	global_store_b64 v[36:37], v[8:9], off offset:648
	global_store_b64 v[36:37], v[18:19], off offset:1296
	global_store_b64 v[0:1], v[16:17], off
	global_store_b64 v[2:3], v[20:21], off
	;; [unrolled: 1-line block ×6, first 2 shown]
.LBB0_10:
	s_nop 0
	s_sendmsg sendmsg(MSG_DEALLOC_VGPRS)
	s_endpgm
	.section	.rodata,"a",@progbits
	.p2align	6, 0x0
	.amdhsa_kernel fft_rtc_fwd_len243_factors_9_9_3_wgs_189_tpt_27_dim3_sp_op_CI_CI_unitstride_sbrr_dirReg
		.amdhsa_group_segment_fixed_size 0
		.amdhsa_private_segment_fixed_size 0
		.amdhsa_kernarg_size 96
		.amdhsa_user_sgpr_count 2
		.amdhsa_user_sgpr_dispatch_ptr 0
		.amdhsa_user_sgpr_queue_ptr 0
		.amdhsa_user_sgpr_kernarg_segment_ptr 1
		.amdhsa_user_sgpr_dispatch_id 0
		.amdhsa_user_sgpr_private_segment_size 0
		.amdhsa_wavefront_size32 1
		.amdhsa_uses_dynamic_stack 0
		.amdhsa_enable_private_segment 0
		.amdhsa_system_sgpr_workgroup_id_x 1
		.amdhsa_system_sgpr_workgroup_id_y 0
		.amdhsa_system_sgpr_workgroup_id_z 0
		.amdhsa_system_sgpr_workgroup_info 0
		.amdhsa_system_vgpr_workitem_id 0
		.amdhsa_next_free_vgpr 52
		.amdhsa_next_free_sgpr 16
		.amdhsa_reserve_vcc 1
		.amdhsa_float_round_mode_32 0
		.amdhsa_float_round_mode_16_64 0
		.amdhsa_float_denorm_mode_32 3
		.amdhsa_float_denorm_mode_16_64 3
		.amdhsa_fp16_overflow 0
		.amdhsa_workgroup_processor_mode 1
		.amdhsa_memory_ordered 1
		.amdhsa_forward_progress 0
		.amdhsa_round_robin_scheduling 0
		.amdhsa_exception_fp_ieee_invalid_op 0
		.amdhsa_exception_fp_denorm_src 0
		.amdhsa_exception_fp_ieee_div_zero 0
		.amdhsa_exception_fp_ieee_overflow 0
		.amdhsa_exception_fp_ieee_underflow 0
		.amdhsa_exception_fp_ieee_inexact 0
		.amdhsa_exception_int_div_zero 0
	.end_amdhsa_kernel
	.text
.Lfunc_end0:
	.size	fft_rtc_fwd_len243_factors_9_9_3_wgs_189_tpt_27_dim3_sp_op_CI_CI_unitstride_sbrr_dirReg, .Lfunc_end0-fft_rtc_fwd_len243_factors_9_9_3_wgs_189_tpt_27_dim3_sp_op_CI_CI_unitstride_sbrr_dirReg
                                        ; -- End function
	.section	.AMDGPU.csdata,"",@progbits
; Kernel info:
; codeLenInByte = 4228
; NumSgprs: 18
; NumVgprs: 52
; ScratchSize: 0
; MemoryBound: 0
; FloatMode: 240
; IeeeMode: 1
; LDSByteSize: 0 bytes/workgroup (compile time only)
; SGPRBlocks: 2
; VGPRBlocks: 6
; NumSGPRsForWavesPerEU: 18
; NumVGPRsForWavesPerEU: 52
; Occupancy: 15
; WaveLimiterHint : 1
; COMPUTE_PGM_RSRC2:SCRATCH_EN: 0
; COMPUTE_PGM_RSRC2:USER_SGPR: 2
; COMPUTE_PGM_RSRC2:TRAP_HANDLER: 0
; COMPUTE_PGM_RSRC2:TGID_X_EN: 1
; COMPUTE_PGM_RSRC2:TGID_Y_EN: 0
; COMPUTE_PGM_RSRC2:TGID_Z_EN: 0
; COMPUTE_PGM_RSRC2:TIDIG_COMP_CNT: 0
	.text
	.p2alignl 7, 3214868480
	.fill 96, 4, 3214868480
	.type	__hip_cuid_e3f2c8bb1c75d03a,@object ; @__hip_cuid_e3f2c8bb1c75d03a
	.section	.bss,"aw",@nobits
	.globl	__hip_cuid_e3f2c8bb1c75d03a
__hip_cuid_e3f2c8bb1c75d03a:
	.byte	0                               ; 0x0
	.size	__hip_cuid_e3f2c8bb1c75d03a, 1

	.ident	"AMD clang version 19.0.0git (https://github.com/RadeonOpenCompute/llvm-project roc-6.4.0 25133 c7fe45cf4b819c5991fe208aaa96edf142730f1d)"
	.section	".note.GNU-stack","",@progbits
	.addrsig
	.addrsig_sym __hip_cuid_e3f2c8bb1c75d03a
	.amdgpu_metadata
---
amdhsa.kernels:
  - .args:
      - .actual_access:  read_only
        .address_space:  global
        .offset:         0
        .size:           8
        .value_kind:     global_buffer
      - .actual_access:  read_only
        .address_space:  global
        .offset:         8
        .size:           8
        .value_kind:     global_buffer
      - .actual_access:  read_only
        .address_space:  global
        .offset:         16
        .size:           8
        .value_kind:     global_buffer
      - .actual_access:  read_only
        .address_space:  global
        .offset:         24
        .size:           8
        .value_kind:     global_buffer
      - .offset:         32
        .size:           8
        .value_kind:     by_value
      - .actual_access:  read_only
        .address_space:  global
        .offset:         40
        .size:           8
        .value_kind:     global_buffer
      - .actual_access:  read_only
        .address_space:  global
        .offset:         48
        .size:           8
        .value_kind:     global_buffer
      - .offset:         56
        .size:           4
        .value_kind:     by_value
      - .actual_access:  read_only
        .address_space:  global
        .offset:         64
        .size:           8
        .value_kind:     global_buffer
      - .actual_access:  read_only
        .address_space:  global
        .offset:         72
        .size:           8
        .value_kind:     global_buffer
      - .actual_access:  read_only
        .address_space:  global
        .offset:         80
        .size:           8
        .value_kind:     global_buffer
      - .actual_access:  write_only
        .address_space:  global
        .offset:         88
        .size:           8
        .value_kind:     global_buffer
    .group_segment_fixed_size: 0
    .kernarg_segment_align: 8
    .kernarg_segment_size: 96
    .language:       OpenCL C
    .language_version:
      - 2
      - 0
    .max_flat_workgroup_size: 189
    .name:           fft_rtc_fwd_len243_factors_9_9_3_wgs_189_tpt_27_dim3_sp_op_CI_CI_unitstride_sbrr_dirReg
    .private_segment_fixed_size: 0
    .sgpr_count:     18
    .sgpr_spill_count: 0
    .symbol:         fft_rtc_fwd_len243_factors_9_9_3_wgs_189_tpt_27_dim3_sp_op_CI_CI_unitstride_sbrr_dirReg.kd
    .uniform_work_group_size: 1
    .uses_dynamic_stack: false
    .vgpr_count:     52
    .vgpr_spill_count: 0
    .wavefront_size: 32
    .workgroup_processor_mode: 1
amdhsa.target:   amdgcn-amd-amdhsa--gfx1201
amdhsa.version:
  - 1
  - 2
...

	.end_amdgpu_metadata
